;; amdgpu-corpus repo=ROCm/rocFFT kind=compiled arch=gfx950 opt=O3
	.text
	.amdgcn_target "amdgcn-amd-amdhsa--gfx950"
	.amdhsa_code_object_version 6
	.protected	fft_rtc_back_len686_factors_7_7_7_2_wgs_49_tpt_49_sp_op_CI_CI_sbrr_dirReg ; -- Begin function fft_rtc_back_len686_factors_7_7_7_2_wgs_49_tpt_49_sp_op_CI_CI_sbrr_dirReg
	.globl	fft_rtc_back_len686_factors_7_7_7_2_wgs_49_tpt_49_sp_op_CI_CI_sbrr_dirReg
	.p2align	8
	.type	fft_rtc_back_len686_factors_7_7_7_2_wgs_49_tpt_49_sp_op_CI_CI_sbrr_dirReg,@function
fft_rtc_back_len686_factors_7_7_7_2_wgs_49_tpt_49_sp_op_CI_CI_sbrr_dirReg: ; @fft_rtc_back_len686_factors_7_7_7_2_wgs_49_tpt_49_sp_op_CI_CI_sbrr_dirReg
; %bb.0:
	s_load_dwordx4 s[12:15], s[0:1], 0x18
	s_load_dwordx4 s[8:11], s[0:1], 0x0
	;; [unrolled: 1-line block ×3, first 2 shown]
	v_mul_u32_u24_e32 v1, 0x53a, v0
	v_add_u32_sdwa v6, s2, v1 dst_sel:DWORD dst_unused:UNUSED_PAD src0_sel:DWORD src1_sel:WORD_1
	s_waitcnt lgkmcnt(0)
	s_load_dwordx2 s[18:19], s[12:13], 0x0
	s_load_dwordx2 s[16:17], s[14:15], 0x0
	v_mov_b32_e32 v4, 0
	v_cmp_lt_u64_e64 s[2:3], s[10:11], 2
	v_mov_b32_e32 v7, v4
	s_and_b64 vcc, exec, s[2:3]
	v_mov_b64_e32 v[2:3], 0
	s_cbranch_vccnz .LBB0_8
; %bb.1:
	s_load_dwordx2 s[2:3], s[0:1], 0x10
	s_add_u32 s20, s14, 8
	s_addc_u32 s21, s15, 0
	s_add_u32 s22, s12, 8
	s_addc_u32 s23, s13, 0
	s_waitcnt lgkmcnt(0)
	s_add_u32 s24, s2, 8
	v_mov_b64_e32 v[2:3], 0
	s_addc_u32 s25, s3, 0
	s_mov_b64 s[26:27], 1
	v_mov_b64_e32 v[16:17], v[2:3]
.LBB0_2:                                ; =>This Inner Loop Header: Depth=1
	s_load_dwordx2 s[28:29], s[24:25], 0x0
                                        ; implicit-def: $vgpr20_vgpr21
	s_waitcnt lgkmcnt(0)
	v_or_b32_e32 v5, s29, v7
	v_cmp_ne_u64_e32 vcc, 0, v[4:5]
	s_and_saveexec_b64 s[2:3], vcc
	s_xor_b64 s[30:31], exec, s[2:3]
	s_cbranch_execz .LBB0_4
; %bb.3:                                ;   in Loop: Header=BB0_2 Depth=1
	v_cvt_f32_u32_e32 v1, s28
	v_cvt_f32_u32_e32 v5, s29
	s_sub_u32 s2, 0, s28
	s_subb_u32 s3, 0, s29
	v_fmac_f32_e32 v1, 0x4f800000, v5
	v_rcp_f32_e32 v1, v1
	s_nop 0
	v_mul_f32_e32 v1, 0x5f7ffffc, v1
	v_mul_f32_e32 v5, 0x2f800000, v1
	v_trunc_f32_e32 v5, v5
	v_fmac_f32_e32 v1, 0xcf800000, v5
	v_cvt_u32_f32_e32 v5, v5
	v_cvt_u32_f32_e32 v1, v1
	v_mul_lo_u32 v8, s2, v5
	v_mul_hi_u32 v10, s2, v1
	v_mul_lo_u32 v9, s3, v1
	v_add_u32_e32 v10, v10, v8
	v_mul_lo_u32 v12, s2, v1
	v_add_u32_e32 v13, v10, v9
	v_mul_hi_u32 v8, v1, v12
	v_mul_hi_u32 v11, v1, v13
	v_mul_lo_u32 v10, v1, v13
	v_mov_b32_e32 v9, v4
	v_lshl_add_u64 v[8:9], v[8:9], 0, v[10:11]
	v_mul_hi_u32 v11, v5, v12
	v_mul_lo_u32 v12, v5, v12
	v_add_co_u32_e32 v8, vcc, v8, v12
	v_mul_hi_u32 v10, v5, v13
	s_nop 0
	v_addc_co_u32_e32 v8, vcc, v9, v11, vcc
	v_mov_b32_e32 v9, v4
	s_nop 0
	v_addc_co_u32_e32 v11, vcc, 0, v10, vcc
	v_mul_lo_u32 v10, v5, v13
	v_lshl_add_u64 v[8:9], v[8:9], 0, v[10:11]
	v_add_co_u32_e32 v1, vcc, v1, v8
	v_mul_lo_u32 v10, s2, v1
	s_nop 0
	v_addc_co_u32_e32 v5, vcc, v5, v9, vcc
	v_mul_lo_u32 v8, s2, v5
	v_mul_hi_u32 v9, s2, v1
	v_add_u32_e32 v8, v9, v8
	v_mul_lo_u32 v9, s3, v1
	v_add_u32_e32 v12, v8, v9
	v_mul_hi_u32 v14, v5, v10
	v_mul_lo_u32 v15, v5, v10
	v_mul_hi_u32 v9, v1, v12
	v_mul_lo_u32 v8, v1, v12
	v_mul_hi_u32 v10, v1, v10
	v_mov_b32_e32 v11, v4
	v_lshl_add_u64 v[8:9], v[10:11], 0, v[8:9]
	v_add_co_u32_e32 v8, vcc, v8, v15
	v_mul_hi_u32 v13, v5, v12
	s_nop 0
	v_addc_co_u32_e32 v8, vcc, v9, v14, vcc
	v_mul_lo_u32 v10, v5, v12
	s_nop 0
	v_addc_co_u32_e32 v11, vcc, 0, v13, vcc
	v_mov_b32_e32 v9, v4
	v_lshl_add_u64 v[8:9], v[8:9], 0, v[10:11]
	v_add_co_u32_e32 v1, vcc, v1, v8
	v_mul_hi_u32 v10, v6, v1
	s_nop 0
	v_addc_co_u32_e32 v5, vcc, v5, v9, vcc
	v_mad_u64_u32 v[8:9], s[2:3], v6, v5, 0
	v_mov_b32_e32 v11, v4
	v_lshl_add_u64 v[8:9], v[10:11], 0, v[8:9]
	v_mad_u64_u32 v[12:13], s[2:3], v7, v1, 0
	v_add_co_u32_e32 v1, vcc, v8, v12
	v_mad_u64_u32 v[10:11], s[2:3], v7, v5, 0
	s_nop 0
	v_addc_co_u32_e32 v8, vcc, v9, v13, vcc
	v_mov_b32_e32 v9, v4
	s_nop 0
	v_addc_co_u32_e32 v11, vcc, 0, v11, vcc
	v_lshl_add_u64 v[8:9], v[8:9], 0, v[10:11]
	v_mul_lo_u32 v1, s29, v8
	v_mul_lo_u32 v5, s28, v9
	v_mad_u64_u32 v[10:11], s[2:3], s28, v8, 0
	v_add3_u32 v1, v11, v5, v1
	v_sub_u32_e32 v5, v7, v1
	v_mov_b32_e32 v11, s29
	v_sub_co_u32_e32 v14, vcc, v6, v10
	v_lshl_add_u64 v[12:13], v[8:9], 0, 1
	s_nop 0
	v_subb_co_u32_e64 v5, s[2:3], v5, v11, vcc
	v_subrev_co_u32_e64 v10, s[2:3], s28, v14
	v_subb_co_u32_e32 v1, vcc, v7, v1, vcc
	s_nop 0
	v_subbrev_co_u32_e64 v5, s[2:3], 0, v5, s[2:3]
	v_cmp_le_u32_e64 s[2:3], s29, v5
	v_cmp_le_u32_e32 vcc, s29, v1
	s_nop 0
	v_cndmask_b32_e64 v11, 0, -1, s[2:3]
	v_cmp_le_u32_e64 s[2:3], s28, v10
	s_nop 1
	v_cndmask_b32_e64 v10, 0, -1, s[2:3]
	v_cmp_eq_u32_e64 s[2:3], s29, v5
	s_nop 1
	v_cndmask_b32_e64 v5, v11, v10, s[2:3]
	v_lshl_add_u64 v[10:11], v[8:9], 0, 2
	v_cmp_ne_u32_e64 s[2:3], 0, v5
	s_nop 1
	v_cndmask_b32_e64 v5, v13, v11, s[2:3]
	v_cndmask_b32_e64 v11, 0, -1, vcc
	v_cmp_le_u32_e32 vcc, s28, v14
	s_nop 1
	v_cndmask_b32_e64 v13, 0, -1, vcc
	v_cmp_eq_u32_e32 vcc, s29, v1
	s_nop 1
	v_cndmask_b32_e32 v1, v11, v13, vcc
	v_cmp_ne_u32_e32 vcc, 0, v1
	v_cndmask_b32_e64 v1, v12, v10, s[2:3]
	s_nop 0
	v_cndmask_b32_e32 v21, v9, v5, vcc
	v_cndmask_b32_e32 v20, v8, v1, vcc
.LBB0_4:                                ;   in Loop: Header=BB0_2 Depth=1
	s_andn2_saveexec_b64 s[2:3], s[30:31]
	s_cbranch_execz .LBB0_6
; %bb.5:                                ;   in Loop: Header=BB0_2 Depth=1
	v_cvt_f32_u32_e32 v1, s28
	s_sub_i32 s30, 0, s28
	v_mov_b32_e32 v21, v4
	v_rcp_iflag_f32_e32 v1, v1
	s_nop 0
	v_mul_f32_e32 v1, 0x4f7ffffe, v1
	v_cvt_u32_f32_e32 v1, v1
	v_mul_lo_u32 v5, s30, v1
	v_mul_hi_u32 v5, v1, v5
	v_add_u32_e32 v1, v1, v5
	v_mul_hi_u32 v1, v6, v1
	v_mul_lo_u32 v5, v1, s28
	v_sub_u32_e32 v5, v6, v5
	v_add_u32_e32 v8, 1, v1
	v_subrev_u32_e32 v9, s28, v5
	v_cmp_le_u32_e32 vcc, s28, v5
	s_nop 1
	v_cndmask_b32_e32 v5, v5, v9, vcc
	v_cndmask_b32_e32 v1, v1, v8, vcc
	v_add_u32_e32 v8, 1, v1
	v_cmp_le_u32_e32 vcc, s28, v5
	s_nop 1
	v_cndmask_b32_e32 v20, v1, v8, vcc
.LBB0_6:                                ;   in Loop: Header=BB0_2 Depth=1
	s_or_b64 exec, exec, s[2:3]
	v_mad_u64_u32 v[8:9], s[2:3], v20, s28, 0
	s_load_dwordx2 s[2:3], s[22:23], 0x0
	v_mul_lo_u32 v1, v21, s28
	v_mul_lo_u32 v5, v20, s29
	s_load_dwordx2 s[28:29], s[20:21], 0x0
	s_add_u32 s26, s26, 1
	v_add3_u32 v1, v9, v5, v1
	v_sub_co_u32_e32 v5, vcc, v6, v8
	s_addc_u32 s27, s27, 0
	s_nop 0
	v_subb_co_u32_e32 v1, vcc, v7, v1, vcc
	s_add_u32 s20, s20, 8
	s_waitcnt lgkmcnt(0)
	v_mul_lo_u32 v6, s2, v1
	v_mul_lo_u32 v7, s3, v5
	v_mad_u64_u32 v[2:3], s[2:3], s2, v5, v[2:3]
	s_addc_u32 s21, s21, 0
	v_add3_u32 v3, v7, v3, v6
	v_mul_lo_u32 v1, s28, v1
	v_mul_lo_u32 v6, s29, v5
	v_mad_u64_u32 v[16:17], s[2:3], s28, v5, v[16:17]
	s_add_u32 s22, s22, 8
	v_add3_u32 v17, v6, v17, v1
	s_addc_u32 s23, s23, 0
	v_mov_b64_e32 v[6:7], s[10:11]
	s_add_u32 s24, s24, 8
	v_cmp_ge_u64_e32 vcc, s[26:27], v[6:7]
	s_addc_u32 s25, s25, 0
	s_cbranch_vccnz .LBB0_9
; %bb.7:                                ;   in Loop: Header=BB0_2 Depth=1
	v_mov_b64_e32 v[6:7], v[20:21]
	s_branch .LBB0_2
.LBB0_8:
	v_mov_b64_e32 v[16:17], v[2:3]
	v_mov_b64_e32 v[20:21], v[6:7]
.LBB0_9:
	s_load_dwordx2 s[0:1], s[0:1], 0x28
	s_lshl_b64 s[10:11], s[10:11], 3
	s_add_u32 s2, s14, s10
	s_addc_u32 s3, s15, s11
                                        ; implicit-def: $vgpr18
                                        ; implicit-def: $vgpr22
                                        ; implicit-def: $vgpr26
                                        ; implicit-def: $vgpr30
                                        ; implicit-def: $vgpr32
                                        ; implicit-def: $vgpr24
                                        ; implicit-def: $vgpr28
	s_waitcnt lgkmcnt(0)
	v_cmp_gt_u64_e32 vcc, s[0:1], v[20:21]
	v_cmp_le_u64_e64 s[0:1], s[0:1], v[20:21]
	s_and_saveexec_b64 s[14:15], s[0:1]
	s_xor_b64 s[0:1], exec, s[14:15]
	s_cbranch_execz .LBB0_11
; %bb.10:
	s_mov_b32 s14, 0x539782a
	v_mul_hi_u32 v1, v0, s14
	v_mul_u32_u24_e32 v1, 49, v1
	v_sub_u32_e32 v18, v0, v1
	v_mov_b32_e32 v19, 0
	v_add_u32_e32 v22, 49, v18
	v_add_u32_e32 v26, 0x62, v18
	;; [unrolled: 1-line block ×6, first 2 shown]
	v_mov_b32_e32 v23, v19
	v_mov_b32_e32 v27, v19
	;; [unrolled: 1-line block ×6, first 2 shown]
                                        ; implicit-def: $vgpr0
                                        ; implicit-def: $vgpr2_vgpr3
.LBB0_11:
	s_andn2_saveexec_b64 s[0:1], s[0:1]
	s_cbranch_execz .LBB0_13
; %bb.12:
	s_add_u32 s10, s12, s10
	s_addc_u32 s11, s13, s11
	s_load_dwordx2 s[10:11], s[10:11], 0x0
	s_mov_b32 s12, 0x539782a
	s_waitcnt lgkmcnt(0)
	v_mul_lo_u32 v1, s11, v20
	v_mul_lo_u32 v6, s10, v21
	v_mad_u64_u32 v[4:5], s[10:11], s10, v20, 0
	v_add3_u32 v5, v5, v6, v1
	v_mul_hi_u32 v1, v0, s12
	v_mul_u32_u24_e32 v1, 49, v1
	v_sub_u32_e32 v18, v0, v1
	v_mad_u64_u32 v[0:1], s[10:11], s18, v18, 0
	v_mov_b32_e32 v6, v1
	v_lshl_add_u64 v[4:5], v[4:5], 3, s[4:5]
	v_add_u32_e32 v22, 49, v18
	v_mad_u64_u32 v[6:7], s[10:11], s19, v18, v[6:7]
	v_lshl_add_u64 v[2:3], v[2:3], 3, v[4:5]
	v_mad_u64_u32 v[4:5], s[4:5], s18, v22, 0
	v_mov_b32_e32 v1, v6
	v_mov_b32_e32 v6, v5
	v_mad_u64_u32 v[6:7], s[4:5], s19, v22, v[6:7]
	v_add_u32_e32 v26, 0x62, v18
	v_mov_b32_e32 v5, v6
	v_mad_u64_u32 v[6:7], s[4:5], s18, v26, 0
	v_mov_b32_e32 v8, v7
	v_mad_u64_u32 v[8:9], s[4:5], s19, v26, v[8:9]
	v_add_u32_e32 v24, 0x93, v18
	v_mov_b32_e32 v7, v8
	v_mad_u64_u32 v[8:9], s[4:5], s18, v24, 0
	v_mov_b32_e32 v10, v9
	v_mad_u64_u32 v[10:11], s[4:5], s19, v24, v[10:11]
	v_lshl_add_u64 v[0:1], v[0:1], 3, v[2:3]
	v_mov_b32_e32 v9, v10
	v_add_u32_e32 v30, 0xc4, v18
	v_lshl_add_u64 v[4:5], v[4:5], 3, v[2:3]
	v_lshl_add_u64 v[6:7], v[6:7], 3, v[2:3]
	;; [unrolled: 1-line block ×3, first 2 shown]
	global_load_dwordx2 v[10:11], v[0:1], off
	global_load_dwordx2 v[12:13], v[4:5], off
	;; [unrolled: 1-line block ×4, first 2 shown]
	v_mad_u64_u32 v[0:1], s[4:5], s18, v30, 0
	v_mov_b32_e32 v4, v1
	v_mad_u64_u32 v[4:5], s[4:5], s19, v30, v[4:5]
	v_add_u32_e32 v28, 0xf5, v18
	v_mov_b32_e32 v1, v4
	v_mad_u64_u32 v[4:5], s[4:5], s18, v28, 0
	v_mov_b32_e32 v6, v5
	v_mad_u64_u32 v[6:7], s[4:5], s19, v28, v[6:7]
	v_add_u32_e32 v32, 0x126, v18
	v_mov_b32_e32 v5, v6
	;; [unrolled: 5-line block ×3, first 2 shown]
	v_mad_u64_u32 v[8:9], s[4:5], s18, v19, 0
	v_mov_b32_e32 v36, v9
	v_mad_u64_u32 v[36:37], s[4:5], s19, v19, v[36:37]
	v_lshl_add_u64 v[0:1], v[0:1], 3, v[2:3]
	v_lshl_add_u64 v[4:5], v[4:5], 3, v[2:3]
	v_mov_b32_e32 v9, v36
	v_lshl_add_u64 v[6:7], v[6:7], 3, v[2:3]
	v_lshl_add_u64 v[8:9], v[8:9], 3, v[2:3]
	global_load_dwordx2 v[36:37], v[0:1], off
	global_load_dwordx2 v[38:39], v[4:5], off
	;; [unrolled: 1-line block ×4, first 2 shown]
	v_add_u32_e32 v5, 0x188, v18
	v_mad_u64_u32 v[0:1], s[4:5], s18, v5, 0
	v_mov_b32_e32 v4, v1
	v_mad_u64_u32 v[4:5], s[4:5], s19, v5, v[4:5]
	v_add_u32_e32 v7, 0x1b9, v18
	v_mov_b32_e32 v1, v4
	v_mad_u64_u32 v[4:5], s[4:5], s18, v7, 0
	v_mov_b32_e32 v6, v5
	v_mad_u64_u32 v[6:7], s[4:5], s19, v7, v[6:7]
	v_add_u32_e32 v9, 0x1ea, v18
	v_mov_b32_e32 v5, v6
	;; [unrolled: 5-line block ×3, first 2 shown]
	v_mad_u64_u32 v[8:9], s[4:5], s18, v19, 0
	v_mov_b32_e32 v44, v9
	v_mad_u64_u32 v[44:45], s[4:5], s19, v19, v[44:45]
	v_lshl_add_u64 v[0:1], v[0:1], 3, v[2:3]
	v_lshl_add_u64 v[4:5], v[4:5], 3, v[2:3]
	v_mov_b32_e32 v9, v44
	v_lshl_add_u64 v[6:7], v[6:7], 3, v[2:3]
	v_lshl_add_u64 v[8:9], v[8:9], 3, v[2:3]
	global_load_dwordx2 v[44:45], v[0:1], off
	global_load_dwordx2 v[46:47], v[4:5], off
	;; [unrolled: 1-line block ×4, first 2 shown]
	v_add_u32_e32 v5, 0x24c, v18
	v_mad_u64_u32 v[0:1], s[4:5], s18, v5, 0
	v_mov_b32_e32 v4, v1
	v_mad_u64_u32 v[4:5], s[4:5], s19, v5, v[4:5]
	v_add_u32_e32 v7, 0x27d, v18
	v_mov_b32_e32 v1, v4
	v_mad_u64_u32 v[4:5], s[4:5], s18, v7, 0
	v_mov_b32_e32 v6, v5
	v_mad_u64_u32 v[6:7], s[4:5], s19, v7, v[6:7]
	v_lshl_add_u64 v[0:1], v[0:1], 3, v[2:3]
	v_mov_b32_e32 v5, v6
	v_lshl_add_u64 v[2:3], v[4:5], 3, v[2:3]
	global_load_dwordx2 v[4:5], v[0:1], off
	global_load_dwordx2 v[6:7], v[2:3], off
	v_lshl_add_u32 v0, v18, 3, 0
	v_mov_b32_e32 v19, 0
	v_add_u32_e32 v1, 0x800, v0
	v_mov_b32_e32 v23, v19
	s_waitcnt vmcnt(12)
	ds_write2_b64 v0, v[10:11], v[12:13] offset1:49
	v_mov_b32_e32 v27, v19
	v_mov_b32_e32 v25, v19
	s_waitcnt vmcnt(10)
	ds_write2_b64 v0, v[14:15], v[34:35] offset0:98 offset1:147
	v_mov_b32_e32 v31, v19
	v_mov_b32_e32 v29, v19
	;; [unrolled: 1-line block ×3, first 2 shown]
	s_waitcnt vmcnt(8)
	ds_write2_b64 v0, v[36:37], v[38:39] offset0:196 offset1:245
	s_waitcnt vmcnt(6)
	ds_write2_b64 v1, v[40:41], v[42:43] offset0:38 offset1:87
	;; [unrolled: 2-line block ×3, first 2 shown]
	v_add_u32_e32 v1, 0xc00, v0
	v_add_u32_e32 v0, 0x1000, v0
	s_waitcnt vmcnt(2)
	ds_write2_b64 v1, v[48:49], v[50:51] offset0:106 offset1:155
	s_waitcnt vmcnt(0)
	ds_write2_b64 v0, v[4:5], v[6:7] offset0:76 offset1:125
.LBB0_13:
	s_or_b64 exec, exec, s[0:1]
	v_lshl_add_u32 v42, v18, 3, 0
	v_add_u32_e32 v44, 0x800, v42
	v_add_u32_e32 v43, 0x1000, v42
	s_load_dwordx2 s[0:1], s[2:3], 0x0
	s_waitcnt lgkmcnt(0)
	; wave barrier
	s_waitcnt lgkmcnt(0)
	ds_read2_b64 v[0:3], v42 offset0:98 offset1:147
	ds_read2_b64 v[4:7], v42 offset0:196 offset1:245
	;; [unrolled: 1-line block ×3, first 2 shown]
	v_add_u32_e32 v45, 0xc00, v42
	ds_read2_b64 v[12:15], v43 offset0:76 offset1:125
	ds_read2_b64 v[34:37], v45 offset0:106 offset1:155
	;; [unrolled: 1-line block ×3, first 2 shown]
	s_mov_b32 s4, 0xbeae86e6
	s_mov_b32 s5, 0x3f08b237
	s_waitcnt lgkmcnt(2)
	v_pk_add_f32 v[50:51], v[0:1], v[12:13]
	s_waitcnt lgkmcnt(1)
	v_pk_add_f32 v[52:53], v[4:5], v[34:35]
	;; [unrolled: 2-line block ×3, first 2 shown]
	v_pk_add_f32 v[48:49], v[52:53], v[50:51]
	v_pk_add_f32 v[0:1], v[0:1], v[12:13] neg_lo:[0,1] neg_hi:[0,1]
	v_pk_add_f32 v[4:5], v[4:5], v[34:35] neg_lo:[0,1] neg_hi:[0,1]
	v_mov_b32_e32 v12, v46
	v_mov_b32_e32 v13, v51
	;; [unrolled: 1-line block ×4, first 2 shown]
	v_pk_add_f32 v[54:55], v[46:47], v[48:49]
	v_pk_add_f32 v[8:9], v[38:39], v[8:9] neg_lo:[0,1] neg_hi:[0,1]
	v_pk_add_f32 v[12:13], v[12:13], v[34:35] neg_lo:[0,1] neg_hi:[0,1]
	v_mov_b32_e32 v34, v50
	v_mov_b32_e32 v47, v53
	v_pk_add_f32 v[34:35], v[34:35], v[46:47] neg_lo:[0,1] neg_hi:[0,1]
	v_mov_b32_e32 v38, v9
	v_mov_b32_e32 v39, v0
	;; [unrolled: 1-line block ×4, first 2 shown]
	v_pk_add_f32 v[38:39], v[38:39], v[46:47] neg_lo:[0,1] neg_hi:[0,1]
	v_mov_b32_e32 v46, v1
	v_mov_b32_e32 v48, v9
	;; [unrolled: 1-line block ×3, first 2 shown]
	v_pk_add_f32 v[8:9], v[8:9], v[4:5]
	s_mov_b32 s18, s5
	s_mov_b32 s19, s4
	v_pk_add_f32 v[56:57], v[46:47], v[48:49] neg_lo:[0,1] neg_hi:[0,1]
	v_pk_add_f32 v[8:9], v[8:9], v[0:1]
	s_mov_b32 s2, 0xbee1c552
	v_pk_mul_f32 v[38:39], v[38:39], s[18:19]
	v_pk_mul_f32 v[46:47], v[8:9], s[2:3] op_sel_hi:[1,0]
	v_pk_fma_f32 v[48:49], v[56:57], s[4:5], v[38:39]
	s_mov_b32 s22, 0x3d64c772
	v_pk_add_f32 v[58:59], v[46:47], v[48:49] op_sel:[1,0] op_sel_hi:[0,1]
	ds_read2_b64 v[46:49], v42 offset1:49
	s_mov_b32 s23, 0x3f4a47b2
	s_mov_b32 s20, 0x3f955555
	v_pk_mul_f32 v[12:13], v[12:13], s[22:23]
	s_mov_b32 s14, s23
	s_mov_b32 s15, s22
	s_waitcnt lgkmcnt(0)
	v_pk_add_f32 v[46:47], v[46:47], v[54:55]
	v_pk_fma_f32 v[60:61], v[34:35], s[14:15], v[12:13]
	v_pk_fma_f32 v[54:55], v[54:55], s[20:21], v[46:47] op_sel_hi:[1,0,1] neg_lo:[1,0,0] neg_hi:[1,0,0]
	v_pk_add_f32 v[0:1], v[4:5], v[0:1] neg_lo:[0,1] neg_hi:[0,1]
	v_pk_add_f32 v[60:61], v[60:61], v[54:55]
	v_pk_mul_f32 v[4:5], v[34:35], s[14:15]
	v_pk_add_f32 v[62:63], v[60:61], v[58:59]
	v_pk_add_f32 v[58:59], v[60:61], v[58:59] neg_lo:[0,1] neg_hi:[0,1]
	v_mov_b32_e32 v60, v62
	v_mov_b32_e32 v61, v59
	v_mad_u32_u24 v62, v18, 48, v42
	s_waitcnt lgkmcnt(0)
	; wave barrier
	ds_write2_b64 v62, v[46:47], v[60:61] offset1:1
	v_pk_add_f32 v[46:47], v[52:53], v[50:51] neg_lo:[0,1] neg_hi:[0,1]
	v_pk_mul_f32 v[34:35], v[56:57], s[4:5]
	s_mov_b32 s12, 0x3f3bfb3b
	v_mov_b32_e32 v51, v13
	v_mov_b32_e32 v13, v5
	s_mov_b32 s10, 0xbf5ff5aa
	v_mov_b32_e32 v50, v4
	v_mov_b32_e32 v52, v39
	;; [unrolled: 1-line block ×3, first 2 shown]
	v_pk_fma_f32 v[4:5], v[46:47], s[12:13], v[12:13] op_sel_hi:[1,0,1] neg_lo:[0,0,1] neg_hi:[0,0,1]
	v_mov_b32_e32 v12, v35
	v_mov_b32_e32 v13, v38
	v_pk_fma_f32 v[50:51], v[46:47], s[12:13], v[50:51] op_sel_hi:[1,0,1] neg_lo:[1,0,1] neg_hi:[1,0,1]
	v_pk_fma_f32 v[52:53], v[0:1], s[10:11], v[52:53] op_sel_hi:[1,0,1] neg_lo:[1,0,1] neg_hi:[1,0,1]
	;; [unrolled: 1-line block ×3, first 2 shown]
	v_pk_add_f32 v[50:51], v[50:51], v[54:55]
	v_pk_fma_f32 v[52:53], v[8:9], s[2:3], v[52:53] op_sel_hi:[1,0,1]
	v_pk_add_f32 v[4:5], v[4:5], v[54:55]
	v_pk_fma_f32 v[0:1], v[8:9], s[2:3], v[0:1] op_sel_hi:[1,0,1]
	v_pk_add_f32 v[56:57], v[50:51], v[52:53] op_sel:[0,1] op_sel_hi:[1,0]
	v_pk_add_f32 v[50:51], v[50:51], v[52:53] op_sel:[0,1] op_sel_hi:[1,0] neg_lo:[0,1] neg_hi:[0,1]
	v_pk_add_f32 v[8:9], v[4:5], v[0:1] op_sel:[0,1] op_sel_hi:[1,0] neg_lo:[0,1] neg_hi:[0,1]
	v_pk_add_f32 v[0:1], v[4:5], v[0:1] op_sel:[0,1] op_sel_hi:[1,0]
	v_mov_b32_e32 v4, v56
	v_mov_b32_e32 v5, v51
	;; [unrolled: 1-line block ×6, first 2 shown]
	ds_write2_b64 v62, v[4:5], v[12:13] offset0:2 offset1:3
	v_pk_add_f32 v[4:5], v[2:3], v[14:15]
	v_pk_add_f32 v[8:9], v[6:7], v[36:37]
	ds_write2_b64 v62, v[0:1], v[50:51] offset0:4 offset1:5
	v_pk_add_f32 v[0:1], v[10:11], v[40:41]
	v_pk_add_f32 v[12:13], v[8:9], v[4:5]
	v_pk_add_f32 v[2:3], v[2:3], v[14:15] neg_lo:[0,1] neg_hi:[0,1]
	v_pk_add_f32 v[6:7], v[6:7], v[36:37] neg_lo:[0,1] neg_hi:[0,1]
	;; [unrolled: 1-line block ×3, first 2 shown]
	v_mov_b32_e32 v14, v0
	v_mov_b32_e32 v15, v5
	;; [unrolled: 1-line block ×4, first 2 shown]
	v_pk_add_f32 v[12:13], v[0:1], v[12:13]
	v_pk_add_f32 v[14:15], v[14:15], v[36:37] neg_lo:[0,1] neg_hi:[0,1]
	v_mov_b32_e32 v36, v4
	v_mov_b32_e32 v1, v9
	;; [unrolled: 1-line block ×6, first 2 shown]
	v_pk_add_f32 v[0:1], v[36:37], v[0:1] neg_lo:[0,1] neg_hi:[0,1]
	v_pk_add_f32 v[36:37], v[10:11], v[6:7]
	v_pk_add_f32 v[38:39], v[38:39], v[40:41] neg_lo:[0,1] neg_hi:[0,1]
	v_mov_b32_e32 v40, v3
	v_mov_b32_e32 v10, v11
	;; [unrolled: 1-line block ×3, first 2 shown]
	v_pk_add_f32 v[34:35], v[48:49], v[12:13]
	v_pk_add_f32 v[10:11], v[40:41], v[10:11] neg_lo:[0,1] neg_hi:[0,1]
	v_pk_add_f32 v[36:37], v[36:37], v[2:3]
	v_pk_mul_f32 v[14:15], v[14:15], s[22:23]
	v_pk_mul_f32 v[38:39], v[38:39], s[18:19]
	;; [unrolled: 1-line block ×3, first 2 shown]
	v_pk_mul_f32 v[46:47], v[36:37], s[2:3] op_sel_hi:[1,0]
	v_pk_mul_f32 v[48:49], v[10:11], s[4:5]
	v_pk_fma_f32 v[12:13], v[12:13], s[20:21], v[34:35] op_sel_hi:[1,0,1] neg_lo:[1,0,0] neg_hi:[1,0,0]
	v_pk_fma_f32 v[0:1], v[0:1], s[14:15], v[14:15]
	v_pk_fma_f32 v[10:11], v[10:11], s[4:5], v[38:39]
	v_pk_add_f32 v[0:1], v[0:1], v[12:13]
	v_pk_add_f32 v[10:11], v[46:47], v[10:11] op_sel:[1,0] op_sel_hi:[0,1]
	v_pk_add_f32 v[4:5], v[8:9], v[4:5] neg_lo:[0,1] neg_hi:[0,1]
	v_pk_add_f32 v[2:3], v[6:7], v[2:3] neg_lo:[0,1] neg_hi:[0,1]
	v_mov_b32_e32 v6, v40
	v_mov_b32_e32 v7, v15
	;; [unrolled: 1-line block ×4, first 2 shown]
	v_pk_add_f32 v[46:47], v[0:1], v[10:11]
	v_pk_add_f32 v[0:1], v[0:1], v[10:11] neg_lo:[0,1] neg_hi:[0,1]
	v_pk_fma_f32 v[6:7], v[4:5], s[12:13], v[6:7] op_sel_hi:[1,0,1] neg_lo:[1,0,1] neg_hi:[1,0,1]
	v_pk_fma_f32 v[8:9], v[2:3], s[10:11], v[8:9] op_sel_hi:[1,0,1] neg_lo:[1,0,1] neg_hi:[1,0,1]
	v_mad_i32_i24 v64, v22, 56, 0
	v_mov_b32_e32 v59, v63
	v_mov_b32_e32 v10, v46
	;; [unrolled: 1-line block ×3, first 2 shown]
	v_pk_add_f32 v[6:7], v[6:7], v[12:13]
	v_pk_fma_f32 v[8:9], v[36:37], s[2:3], v[8:9] op_sel_hi:[1,0,1]
	ds_write_b64 v62, v[58:59] offset:48
	ds_write2_b64 v64, v[34:35], v[10:11] offset1:1
	v_pk_add_f32 v[10:11], v[6:7], v[8:9] op_sel:[0,1] op_sel_hi:[1,0]
	v_pk_add_f32 v[6:7], v[6:7], v[8:9] op_sel:[0,1] op_sel_hi:[1,0] neg_lo:[0,1] neg_hi:[0,1]
	v_mov_b32_e32 v15, v41
	v_mov_b32_e32 v8, v49
	;; [unrolled: 1-line block ×3, first 2 shown]
	v_pk_fma_f32 v[4:5], v[4:5], s[12:13], v[14:15] op_sel_hi:[1,0,1] neg_lo:[0,0,1] neg_hi:[0,0,1]
	v_pk_fma_f32 v[2:3], v[2:3], s[10:11], v[8:9] op_sel_hi:[1,0,1] neg_lo:[0,0,1] neg_hi:[0,0,1]
	v_pk_add_f32 v[4:5], v[4:5], v[12:13]
	v_pk_fma_f32 v[2:3], v[36:37], s[2:3], v[2:3] op_sel_hi:[1,0,1]
	v_mov_b32_e32 v1, v47
	v_pk_add_f32 v[8:9], v[4:5], v[2:3] op_sel:[0,1] op_sel_hi:[1,0] neg_lo:[0,1] neg_hi:[0,1]
	v_pk_add_f32 v[2:3], v[4:5], v[2:3] op_sel:[0,1] op_sel_hi:[1,0]
	ds_write_b64 v64, v[0:1] offset:48
	v_mov_b32_e32 v0, 37
	v_mov_b32_e32 v5, v7
	;; [unrolled: 1-line block ×5, first 2 shown]
	v_mul_lo_u16_sdwa v1, v18, v0 dst_sel:DWORD dst_unused:UNUSED_PAD src0_sel:BYTE_0 src1_sel:DWORD
	ds_write2_b64 v64, v[2:3], v[6:7] offset0:4 offset1:5
	v_sub_u16_sdwa v2, v18, v1 dst_sel:DWORD dst_unused:UNUSED_PAD src0_sel:DWORD src1_sel:BYTE_1
	v_lshrrev_b16_e32 v2, 1, v2
	v_and_b32_e32 v2, 0x7f, v2
	v_add_u16_sdwa v1, v2, v1 dst_sel:DWORD dst_unused:UNUSED_PAD src0_sel:DWORD src1_sel:BYTE_1
	v_mov_b32_e32 v4, v10
	v_mov_b32_e32 v12, v8
	v_lshrrev_b16_e32 v88, 2, v1
	ds_write2_b64 v64, v[4:5], v[12:13] offset0:2 offset1:3
	v_mul_lo_u16_e32 v1, 7, v88
	v_mul_lo_u16_sdwa v5, v22, v0 dst_sel:DWORD dst_unused:UNUSED_PAD src0_sel:BYTE_0 src1_sel:DWORD
	v_sub_u16_e32 v89, v18, v1
	v_mov_b32_e32 v4, 6
	v_sub_u16_sdwa v0, v22, v5 dst_sel:DWORD dst_unused:UNUSED_PAD src0_sel:DWORD src1_sel:BYTE_1
	v_mul_u32_u24_sdwa v1, v89, v4 dst_sel:DWORD dst_unused:UNUSED_PAD src0_sel:BYTE_0 src1_sel:DWORD
	v_lshrrev_b16_e32 v0, 1, v0
	v_lshlrev_b32_e32 v46, 3, v1
	v_and_b32_e32 v6, 0x7f, v0
	s_waitcnt lgkmcnt(0)
	; wave barrier
	s_waitcnt lgkmcnt(0)
	global_load_dwordx4 v[0:3], v46, s[8:9]
	v_add_u16_sdwa v5, v6, v5 dst_sel:DWORD dst_unused:UNUSED_PAD src0_sel:DWORD src1_sel:BYTE_1
	v_lshrrev_b16_e32 v90, 2, v5
	v_mul_lo_u16_e32 v5, 7, v90
	v_sub_u16_e32 v91, v22, v5
	v_mul_u32_u24_sdwa v4, v91, v4 dst_sel:DWORD dst_unused:UNUSED_PAD src0_sel:BYTE_0 src1_sel:DWORD
	v_lshlrev_b32_e32 v47, 3, v4
	global_load_dwordx4 v[4:7], v47, s[8:9] offset:32
	global_load_dwordx4 v[8:11], v46, s[8:9] offset:32
	;; [unrolled: 1-line block ×4, first 2 shown]
	global_load_dwordx4 v[38:41], v47, s[8:9]
	v_lshl_add_u32 v48, v26, 3, 0
	ds_read_b64 v[60:61], v48
	ds_read2_b64 v[50:53], v45 offset0:106 offset1:155
	v_lshl_add_u32 v47, v30, 3, 0
	s_movk_i32 s3, 0xffd0
	ds_read2_b64 v[54:57], v43 offset0:76 offset1:125
	v_lshl_add_u32 v46, v32, 3, 0
	v_mad_i32_i24 v49, v22, s3, v64
	ds_read_b64 v[62:63], v47
	ds_read_b64 v[64:65], v46
	;; [unrolled: 1-line block ×3, first 2 shown]
	s_waitcnt lgkmcnt(5)
	v_mov_b32_e32 v68, v61
	s_waitcnt lgkmcnt(4)
	v_mov_b32_e32 v58, v53
	v_add_u32_e32 v92, 0x400, v42
	s_waitcnt vmcnt(5)
	v_pk_mul_f32 v[70:71], v[0:1], v[60:61] op_sel_hi:[1,0]
	s_nop 0
	v_pk_fma_f32 v[68:69], v[0:1], v[68:69], v[70:71] op_sel:[0,0,1] op_sel_hi:[1,1,0] neg_lo:[0,0,1] neg_hi:[0,0,1]
	v_pk_fma_f32 v[60:61], v[0:1], v[60:61], v[70:71] op_sel:[0,1,1] op_sel_hi:[1,1,0]
	s_waitcnt lgkmcnt(2)
	v_mov_b32_e32 v0, v63
	v_pk_mul_f32 v[70:71], v[2:3], v[62:63] op_sel_hi:[1,0]
	v_mov_b32_e32 v69, v61
	v_pk_fma_f32 v[72:73], v[2:3], v[0:1], v[70:71] op_sel:[0,0,1] op_sel_hi:[1,1,0] neg_lo:[0,0,1] neg_hi:[0,0,1]
	s_waitcnt vmcnt(4)
	v_pk_mul_f32 v[0:1], v[52:53], v[4:5] op_sel_hi:[0,1]
	v_pk_fma_f32 v[62:63], v[2:3], v[62:63], v[70:71] op_sel:[0,1,1] op_sel_hi:[1,1,0]
	v_pk_fma_f32 v[58:59], v[58:59], v[4:5], v[0:1] op_sel:[0,0,1] op_sel_hi:[1,1,0] neg_lo:[0,0,1] neg_hi:[0,0,1]
	v_pk_fma_f32 v[4:5], v[52:53], v[4:5], v[0:1] op_sel:[1,0,1] op_sel_hi:[1,1,0]
	v_mov_b32_e32 v0, v57
	v_pk_mul_f32 v[2:3], v[56:57], v[6:7] op_sel_hi:[0,1]
	v_pk_fma_f32 v[52:53], v[0:1], v[6:7], v[2:3] op_sel:[0,0,1] op_sel_hi:[1,1,0] neg_lo:[0,0,1] neg_hi:[0,0,1]
	v_pk_fma_f32 v[6:7], v[56:57], v[6:7], v[2:3] op_sel:[1,0,1] op_sel_hi:[1,1,0]
	v_mov_b32_e32 v0, v51
	s_waitcnt vmcnt(3)
	v_pk_mul_f32 v[2:3], v[50:51], v[8:9] op_sel_hi:[0,1]
	v_pk_fma_f32 v[50:51], v[50:51], v[8:9], v[2:3] op_sel:[1,0,1] op_sel_hi:[1,1,0]
	v_pk_fma_f32 v[8:9], v[0:1], v[8:9], v[2:3] op_sel:[0,0,1] op_sel_hi:[1,1,0] neg_lo:[0,0,1] neg_hi:[0,0,1]
	v_mov_b32_e32 v0, v55
	v_pk_mul_f32 v[2:3], v[54:55], v[10:11] op_sel_hi:[0,1]
	v_pk_fma_f32 v[54:55], v[54:55], v[10:11], v[2:3] op_sel:[1,0,1] op_sel_hi:[1,1,0]
	v_pk_fma_f32 v[10:11], v[0:1], v[10:11], v[2:3] op_sel:[0,0,1] op_sel_hi:[1,1,0] neg_lo:[0,0,1] neg_hi:[0,0,1]
	ds_read2_b64 v[0:3], v44 offset0:136 offset1:185
	s_waitcnt vmcnt(2) lgkmcnt(2)
	v_mul_f32_e32 v4, v13, v64
	v_fma_f32 v50, v12, v65, -v4
	v_mul_f32_e32 v12, v12, v64
	v_mul_f32_e32 v54, v13, v65
	s_waitcnt lgkmcnt(0)
	v_mul_f32_e32 v4, v15, v0
	v_fma_f32 v56, v14, v1, -v4
	v_mul_f32_e32 v14, v14, v0
	s_waitcnt vmcnt(1)
	v_mov_b32_e32 v0, v37
	v_mul_f32_e32 v60, v15, v1
	v_pk_mul_f32 v[64:65], v[2:3], v[0:1] op_sel:[1,0] op_sel_hi:[0,1]
	v_pk_mul_f32 v[0:1], v[2:3], v[36:37] op_sel:[1,0] op_sel_hi:[0,1]
	v_mov_b32_e32 v0, v1
	v_pk_fma_f32 v[70:71], v[2:3], v[36:37], v[0:1] op_sel:[1,0,0] op_sel_hi:[0,1,1] neg_lo:[0,0,1] neg_hi:[0,0,1]
	v_pk_mul_f32 v[36:37], v[2:3], v[36:37]
	ds_read2_b64 v[0:3], v92 offset0:117 offset1:215
	v_mov_b32_e32 v73, v63
	v_mov_b32_e32 v9, v51
	;; [unrolled: 1-line block ×4, first 2 shown]
	s_waitcnt lgkmcnt(0)
	v_pk_mul_f32 v[74:75], v[2:3], v[34:35] op_sel:[1,0] op_sel_hi:[0,1]
	v_mov_b32_e32 v4, v75
	v_pk_fma_f32 v[74:75], v[2:3], v[34:35], v[4:5] op_sel:[1,0,0] op_sel_hi:[0,1,1] neg_lo:[0,0,1] neg_hi:[0,0,1]
	v_mov_b32_e32 v4, v35
	v_pk_mul_f32 v[76:77], v[2:3], v[34:35]
	v_pk_mul_f32 v[34:35], v[2:3], v[4:5] op_sel:[1,0] op_sel_hi:[0,1]
	v_mov_b32_e32 v2, v1
	s_waitcnt vmcnt(0)
	v_pk_mul_f32 v[78:79], v[0:1], v[40:41] op_sel_hi:[0,1]
	v_pk_fma_f32 v[80:81], v[0:1], v[40:41], v[78:79] op_sel:[1,0,1] op_sel_hi:[1,1,0]
	v_pk_fma_f32 v[40:41], v[2:3], v[40:41], v[78:79] op_sel:[0,0,1] op_sel_hi:[1,1,0] neg_lo:[0,0,1] neg_hi:[0,0,1]
	ds_read2_b64 v[0:3], v42 offset1:147
	v_mov_b32_e32 v61, v10
	v_mov_b32_e32 v13, v72
	;; [unrolled: 1-line block ×3, first 2 shown]
	v_pk_add_f32 v[62:63], v[68:69], v[10:11] neg_lo:[0,1] neg_hi:[0,1]
	s_waitcnt lgkmcnt(0)
	v_mov_b32_e32 v4, v3
	v_pk_mul_f32 v[78:79], v[2:3], v[38:39] op_sel_hi:[0,1]
	v_pk_fma_f32 v[82:83], v[4:5], v[38:39], v[78:79] op_sel:[0,0,1] op_sel_hi:[1,1,0] neg_lo:[0,0,1] neg_hi:[0,0,1]
	v_pk_fma_f32 v[2:3], v[2:3], v[38:39], v[78:79] op_sel:[1,0,1] op_sel_hi:[1,1,0]
	v_pk_add_f32 v[38:39], v[68:69], v[10:11]
	v_pk_add_f32 v[10:11], v[14:15], v[60:61]
	;; [unrolled: 1-line block ×3, first 2 shown]
	v_pk_add_f32 v[60:61], v[72:73], v[8:9] neg_lo:[0,1] neg_hi:[0,1]
	v_pk_add_f32 v[8:9], v[12:13], v[54:55]
	v_mov_b32_e32 v57, v10
	v_mov_b32_e32 v51, v8
	v_pk_add_f32 v[12:13], v[56:57], v[50:51] neg_lo:[0,1] neg_hi:[0,1]
	v_mov_b32_e32 v55, v63
	v_mov_b32_e32 v54, v12
	v_mov_b32_e32 v68, v60
	v_mov_b32_e32 v69, v13
	v_mov_b32_e32 v51, v50
	v_mov_b32_e32 v50, v15
	v_mov_b32_e32 v57, v56
	v_mov_b32_e32 v56, v39
	v_pk_add_f32 v[54:55], v[54:55], v[68:69] neg_lo:[0,1] neg_hi:[0,1]
	v_mov_b32_e32 v68, v62
	v_mov_b32_e32 v72, v12
	;; [unrolled: 1-line block ×3, first 2 shown]
	v_pk_add_f32 v[50:51], v[50:51], v[56:57]
	v_pk_add_f32 v[56:57], v[8:9], v[10:11]
	v_pk_add_f32 v[68:69], v[68:69], v[72:73] neg_lo:[0,1] neg_hi:[0,1]
	v_mov_b32_e32 v10, v56
	v_mov_b32_e32 v72, v15
	;; [unrolled: 1-line block ×4, first 2 shown]
	v_pk_add_f32 v[56:57], v[50:51], v[56:57]
	v_pk_add_f32 v[72:73], v[10:11], v[72:73] neg_lo:[0,1] neg_hi:[0,1]
	v_mov_b32_e32 v50, v39
	v_pk_add_f32 v[0:1], v[56:57], v[0:1]
	v_pk_mul_f32 v[54:55], v[54:55], s[18:19]
	v_pk_add_f32 v[12:13], v[12:13], v[60:61]
	v_pk_add_f32 v[50:51], v[50:51], v[8:9] neg_lo:[0,1] neg_hi:[0,1]
	v_pk_mul_f32 v[72:73], v[72:73], s[22:23]
	v_pk_add_f32 v[12:13], v[12:13], v[62:63]
	v_pk_fma_f32 v[56:57], v[56:57], s[20:21], v[0:1] op_sel_hi:[1,0,1] neg_lo:[1,0,0] neg_hi:[1,0,0]
	v_pk_fma_f32 v[78:79], v[50:51], s[14:15], v[72:73]
	v_pk_fma_f32 v[84:85], v[68:69], s[4:5], v[54:55]
	v_pk_add_f32 v[78:79], v[78:79], v[56:57]
	v_pk_fma_f32 v[84:85], v[12:13], s[2:3], v[84:85] op_sel_hi:[1,0,1]
	v_mov_b32_e32 v80, 3
	v_pk_add_f32 v[86:87], v[78:79], v[84:85]
	v_pk_add_f32 v[78:79], v[78:79], v[84:85] neg_lo:[0,1] neg_hi:[0,1]
	v_mul_u32_u24_e32 v2, 0x188, v88
	v_lshlrev_b32_sdwa v4, v80, v89 dst_sel:DWORD dst_unused:UNUSED_PAD src0_sel:DWORD src1_sel:BYTE_0
	v_mov_b32_e32 v8, v15
	v_mov_b32_e32 v10, v39
	v_add3_u32 v88, 0, v2, v4
	v_mov_b32_e32 v84, v86
	v_mov_b32_e32 v85, v79
	v_pk_add_f32 v[8:9], v[8:9], v[10:11] neg_lo:[0,1] neg_hi:[0,1]
	v_pk_mul_f32 v[10:11], v[68:69], s[4:5]
	v_pk_mul_f32 v[14:15], v[50:51], s[14:15]
	s_waitcnt lgkmcnt(0)
	; wave barrier
	ds_write2_b64 v88, v[0:1], v[84:85] offset1:7
	v_pk_add_f32 v[0:1], v[60:61], v[62:63] neg_lo:[0,1] neg_hi:[0,1]
	v_mov_b32_e32 v38, v14
	v_mov_b32_e32 v39, v73
	;; [unrolled: 1-line block ×6, first 2 shown]
	v_pk_fma_f32 v[38:39], v[8:9], s[12:13], v[38:39] op_sel_hi:[1,0,1] neg_lo:[1,0,1] neg_hi:[1,0,1]
	v_pk_fma_f32 v[50:51], v[0:1], s[10:11], v[50:51] op_sel_hi:[1,0,1] neg_lo:[1,0,1] neg_hi:[1,0,1]
	;; [unrolled: 1-line block ×4, first 2 shown]
	v_pk_add_f32 v[38:39], v[38:39], v[56:57]
	v_pk_fma_f32 v[50:51], v[12:13], s[2:3], v[50:51] op_sel_hi:[1,0,1]
	v_pk_add_f32 v[8:9], v[8:9], v[56:57]
	v_pk_fma_f32 v[0:1], v[12:13], s[2:3], v[0:1] op_sel_hi:[1,0,1]
	v_mov_b32_e32 v37, v82
	v_mov_b32_e32 v65, v52
	;; [unrolled: 1-line block ×4, first 2 shown]
	v_pk_add_f32 v[60:61], v[38:39], v[50:51]
	v_pk_add_f32 v[38:39], v[38:39], v[50:51] neg_lo:[0,1] neg_hi:[0,1]
	v_pk_add_f32 v[10:11], v[8:9], v[0:1] neg_lo:[0,1] neg_hi:[0,1]
	v_pk_add_f32 v[0:1], v[8:9], v[0:1]
	v_mov_b32_e32 v53, v7
	v_pk_add_f32 v[6:7], v[36:37], v[64:65]
	v_pk_add_f32 v[14:15], v[76:77], v[34:35]
	v_mov_b32_e32 v8, v60
	v_mov_b32_e32 v9, v39
	;; [unrolled: 1-line block ×9, first 2 shown]
	ds_write2_b64 v88, v[8:9], v[12:13] offset0:14 offset1:21
	v_pk_add_f32 v[2:3], v[82:83], v[52:53]
	v_pk_add_f32 v[4:5], v[82:83], v[52:53] neg_lo:[0,1] neg_hi:[0,1]
	v_pk_add_f32 v[8:9], v[40:41], v[58:59]
	v_pk_add_f32 v[12:13], v[40:41], v[58:59] neg_lo:[0,1] neg_hi:[0,1]
	v_pk_add_f32 v[34:35], v[70:71], v[74:75] neg_lo:[0,1] neg_hi:[0,1]
	v_mov_b32_e32 v1, v11
	v_mov_b32_e32 v39, v61
	;; [unrolled: 1-line block ×6, first 2 shown]
	ds_write2_b64 v88, v[0:1], v[38:39] offset0:28 offset1:35
	v_mov_b32_e32 v0, v9
	v_mov_b32_e32 v1, v74
	;; [unrolled: 1-line block ×4, first 2 shown]
	v_pk_add_f32 v[36:37], v[36:37], v[40:41] neg_lo:[0,1] neg_hi:[0,1]
	v_mov_b32_e32 v40, v4
	v_mov_b32_e32 v50, v34
	;; [unrolled: 1-line block ×3, first 2 shown]
	v_pk_add_f32 v[0:1], v[0:1], v[38:39]
	v_pk_add_f32 v[38:39], v[14:15], v[6:7]
	v_pk_add_f32 v[40:41], v[40:41], v[50:51] neg_lo:[0,1] neg_hi:[0,1]
	v_mov_b32_e32 v6, v38
	v_mov_b32_e32 v50, v9
	;; [unrolled: 1-line block ×6, first 2 shown]
	v_pk_add_f32 v[50:51], v[6:7], v[50:51] neg_lo:[0,1] neg_hi:[0,1]
	v_pk_add_f32 v[52:53], v[52:53], v[14:15] neg_lo:[0,1] neg_hi:[0,1]
	v_lshlrev_b32_sdwa v2, v80, v91 dst_sel:DWORD dst_unused:UNUSED_PAD src0_sel:DWORD src1_sel:BYTE_0
	v_mul_u32_u24_e32 v8, 0x188, v90
	v_pk_mul_f32 v[10:11], v[36:37], s[18:19]
	v_pk_mul_f32 v[36:37], v[40:41], s[4:5]
	v_pk_add_f32 v[34:35], v[34:35], v[12:13]
	v_pk_add_f32 v[0:1], v[0:1], v[38:39]
	v_pk_mul_f32 v[50:51], v[50:51], s[22:23]
	v_pk_mul_f32 v[54:55], v[52:53], s[14:15]
	v_mov_b32_e32 v14, v9
	v_mov_b32_e32 v6, v3
	v_add3_u32 v58, 0, v8, v2
	v_pk_add_f32 v[34:35], v[34:35], v[4:5]
	v_pk_add_f32 v[38:39], v[0:1], v[66:67]
	v_pk_fma_f32 v[52:53], v[52:53], s[14:15], v[50:51]
	v_pk_fma_f32 v[40:41], v[40:41], s[4:5], v[10:11]
	v_pk_add_f32 v[4:5], v[12:13], v[4:5] neg_lo:[0,1] neg_hi:[0,1]
	v_pk_add_f32 v[2:3], v[14:15], v[6:7] neg_lo:[0,1] neg_hi:[0,1]
	v_mov_b32_e32 v6, v54
	v_mov_b32_e32 v7, v51
	;; [unrolled: 1-line block ×6, first 2 shown]
	v_pk_fma_f32 v[0:1], v[0:1], s[20:21], v[38:39] op_sel_hi:[1,0,1] neg_lo:[1,0,0] neg_hi:[1,0,0]
	v_pk_fma_f32 v[6:7], v[2:3], s[12:13], v[6:7] op_sel_hi:[1,0,1] neg_lo:[1,0,1] neg_hi:[1,0,1]
	v_pk_fma_f32 v[8:9], v[4:5], s[10:11], v[8:9] op_sel_hi:[1,0,1] neg_lo:[1,0,1] neg_hi:[1,0,1]
	v_pk_fma_f32 v[2:3], v[2:3], s[12:13], v[50:51] op_sel_hi:[1,0,1] neg_lo:[0,0,1] neg_hi:[0,0,1]
	v_pk_fma_f32 v[4:5], v[4:5], s[10:11], v[10:11] op_sel_hi:[1,0,1] neg_lo:[0,0,1] neg_hi:[0,0,1]
	v_pk_add_f32 v[52:53], v[52:53], v[0:1]
	v_pk_add_f32 v[6:7], v[6:7], v[0:1]
	v_pk_fma_f32 v[8:9], v[34:35], s[2:3], v[8:9] op_sel_hi:[1,0,1]
	v_pk_add_f32 v[0:1], v[2:3], v[0:1]
	v_pk_fma_f32 v[2:3], v[34:35], s[2:3], v[4:5] op_sel_hi:[1,0,1]
	v_pk_add_f32 v[12:13], v[6:7], v[8:9]
	v_pk_add_f32 v[6:7], v[6:7], v[8:9] neg_lo:[0,1] neg_hi:[0,1]
	v_pk_add_f32 v[4:5], v[0:1], v[2:3] neg_lo:[0,1] neg_hi:[0,1]
	v_pk_add_f32 v[0:1], v[0:1], v[2:3]
	v_mov_b32_e32 v79, v87
	v_pk_fma_f32 v[40:41], v[34:35], s[2:3], v[40:41] op_sel_hi:[1,0,1]
	v_mov_b32_e32 v9, v7
	v_mov_b32_e32 v3, v1
	;; [unrolled: 1-line block ×4, first 2 shown]
	ds_write_b64 v88, v[78:79] offset:336
	v_pk_add_f32 v[56:57], v[52:53], v[40:41]
	v_pk_add_f32 v[40:41], v[52:53], v[40:41] neg_lo:[0,1] neg_hi:[0,1]
	ds_write2_b64 v58, v[0:1], v[6:7] offset0:28 offset1:35
	v_mul_u32_u24_e32 v0, 6, v18
	v_mov_b32_e32 v52, v56
	v_mov_b32_e32 v53, v41
	;; [unrolled: 1-line block ×5, first 2 shown]
	v_lshlrev_b32_e32 v12, 3, v0
	ds_write2_b64 v58, v[38:39], v[52:53] offset1:7
	ds_write2_b64 v58, v[8:9], v[2:3] offset0:14 offset1:21
	ds_write_b64 v58, v[40:41] offset:336
	s_waitcnt lgkmcnt(0)
	; wave barrier
	s_waitcnt lgkmcnt(0)
	global_load_dwordx4 v[0:3], v12, s[8:9] offset:352
	global_load_dwordx4 v[8:11], v12, s[8:9] offset:368
	;; [unrolled: 1-line block ×3, first 2 shown]
	ds_read2_b64 v[50:53], v45 offset0:106 offset1:155
	ds_read2_b64 v[12:15], v44 offset0:136 offset1:185
	s_waitcnt lgkmcnt(1)
	v_mov_b32_e32 v41, v53
	s_waitcnt lgkmcnt(0)
	v_mov_b32_e32 v36, v14
	v_mov_b32_e32 v37, v52
	;; [unrolled: 1-line block ×4, first 2 shown]
	s_waitcnt vmcnt(2)
	v_mov_b32_e32 v38, v3
	s_waitcnt vmcnt(1)
	v_mul_f32_e32 v35, v53, v9
	v_fmac_f32_e32 v35, v52, v8
	v_mov_b32_e32 v52, v2
	v_mov_b32_e32 v53, v9
	v_mov_b32_e32 v39, v8
	v_pk_mul_f32 v[52:53], v[36:37], v[52:53]
	v_mov_b32_e32 v73, v0
	v_pk_fma_f32 v[36:37], v[40:41], v[38:39], v[52:53]
	v_pk_fma_f32 v[38:39], v[40:41], v[38:39], v[52:53] neg_lo:[0,0,1] neg_hi:[0,0,1]
	v_pk_mul_f32 v[52:53], v[8:9], v[50:51] op_sel:[1,1] op_sel_hi:[1,0]
	s_waitcnt vmcnt(0)
	v_mov_b32_e32 v72, v4
	v_pk_fma_f32 v[40:41], v[8:9], v[50:51], v[52:53] op_sel:[0,1,1] op_sel_hi:[0,0,0] neg_lo:[0,0,1] neg_hi:[0,0,1]
	v_pk_fma_f32 v[8:9], v[8:9], v[50:51], v[52:53] op_sel:[0,1,1] op_sel_hi:[0,0,0]
	ds_read_b64 v[54:55], v47
	ds_read2_b64 v[50:53], v92 offset0:117 offset1:215
	ds_read_b64 v[58:59], v46
	ds_read_b64 v[60:61], v49
	;; [unrolled: 1-line block ×3, first 2 shown]
	s_waitcnt lgkmcnt(4)
	v_mov_b32_e32 v8, v55
	v_pk_mul_f32 v[56:57], v[6:7], v[54:55] op_sel_hi:[1,0]
	s_waitcnt lgkmcnt(3)
	v_mul_f32_e32 v71, v51, v7
	v_pk_fma_f32 v[64:65], v[6:7], v[8:9], v[56:57] op_sel:[0,0,1] op_sel_hi:[1,1,0] neg_lo:[0,0,1] neg_hi:[0,0,1]
	v_pk_fma_f32 v[66:67], v[6:7], v[54:55], v[56:57] op_sel:[0,1,1] op_sel_hi:[1,1,0]
	v_mov_b32_e32 v69, v51
	v_mov_b32_e32 v54, v53
	;; [unrolled: 1-line block ×3, first 2 shown]
	v_fmac_f32_e32 v71, v50, v6
	v_mov_b32_e32 v51, v6
	v_mov_b32_e32 v6, v1
	v_pk_mul_f32 v[6:7], v[54:55], v[6:7]
	ds_read2_b64 v[54:57], v42 offset1:147
	v_mov_b32_e32 v68, v52
	v_mov_b32_e32 v50, v0
	v_pk_fma_f32 v[68:69], v[68:69], v[50:51], v[6:7] neg_lo:[0,0,1] neg_hi:[0,0,1]
	v_pk_fma_f32 v[6:7], v[52:53], v[0:1], v[6:7]
	v_mov_b32_e32 v51, v53
	s_waitcnt lgkmcnt(3)
	v_mul_f32_e32 v7, v1, v58
	v_mov_b32_e32 v53, v52
	s_waitcnt lgkmcnt(0)
	v_mov_b32_e32 v52, v57
	v_fma_f32 v8, v0, v59, -v7
	v_mul_f32_e32 v58, v0, v58
	v_mov_b32_e32 v0, v5
	v_mov_b32_e32 v50, v56
	v_pk_mul_f32 v[52:53], v[52:53], v[0:1]
	v_mul_f32_e32 v14, v3, v13
	v_pk_fma_f32 v[74:75], v[50:51], v[72:73], v[52:53]
	v_pk_fma_f32 v[72:73], v[50:51], v[72:73], v[52:53] neg_lo:[0,0,1] neg_hi:[0,0,1]
	ds_read2_b64 v[50:53], v43 offset0:76 offset1:125
	v_mov_b32_e32 v65, v67
	v_mov_b32_e32 v41, v9
	;; [unrolled: 1-line block ×4, first 2 shown]
	s_waitcnt lgkmcnt(0)
	v_mov_b32_e32 v0, v51
	v_pk_mul_f32 v[76:77], v[50:51], v[10:11] op_sel_hi:[0,1]
	v_pk_fma_f32 v[78:79], v[0:1], v[10:11], v[76:77] op_sel:[0,0,1] op_sel_hi:[1,1,0] neg_lo:[0,0,1] neg_hi:[0,0,1]
	v_mul_f32_e32 v0, v3, v12
	v_pk_fma_f32 v[50:51], v[50:51], v[10:11], v[76:77] op_sel:[1,0,1] op_sel_hi:[1,1,0]
	v_mov_b32_e32 v77, v2
	v_fma_f32 v0, v2, v13, -v0
	v_mul_f32_e32 v12, v2, v12
	v_mov_b32_e32 v2, v11
	v_mul_f32_e32 v7, v52, v11
	v_mov_b32_e32 v80, v53
	v_mov_b32_e32 v76, v10
	v_fma_f32 v10, v53, v10, -v7
	v_mov_b32_e32 v53, v15
	v_pk_mul_f32 v[2:3], v[80:81], v[2:3]
	v_mul_f32_e32 v50, v1, v59
	v_pk_fma_f32 v[80:81], v[52:53], v[76:77], v[2:3]
	v_pk_fma_f32 v[2:3], v[52:53], v[76:77], v[2:3] neg_lo:[0,0,1] neg_hi:[0,0,1]
	v_pk_mul_f32 v[52:53], v[4:5], v[62:63] op_sel_hi:[1,0]
	v_mov_b32_e32 v2, v63
	v_pk_fma_f32 v[76:77], v[4:5], v[2:3], v[52:53] op_sel:[0,0,1] op_sel_hi:[1,1,0] neg_lo:[0,0,1] neg_hi:[0,0,1]
	v_mov_b32_e32 v79, v51
	v_mov_b32_e32 v13, v76
	;; [unrolled: 1-line block ×5, first 2 shown]
	v_pk_fma_f32 v[52:53], v[4:5], v[62:63], v[52:53] op_sel:[0,1,1] op_sel_hi:[1,1,0]
	v_mul_f32_e32 v1, v56, v5
	v_pk_add_f32 v[12:13], v[12:13], v[14:15]
	v_pk_add_f32 v[14:15], v[64:65], v[40:41]
	v_pk_add_f32 v[62:63], v[64:65], v[40:41] neg_lo:[0,1] neg_hi:[0,1]
	v_pk_add_f32 v[40:41], v[58:59], v[50:51]
	v_fma_f32 v4, v57, v4, -v1
	v_mov_b32_e32 v77, v53
	v_mov_b32_e32 v1, v12
	;; [unrolled: 1-line block ×3, first 2 shown]
	v_pk_add_f32 v[52:53], v[76:77], v[78:79]
	v_pk_add_f32 v[56:57], v[76:77], v[78:79] neg_lo:[0,1] neg_hi:[0,1]
	v_pk_add_f32 v[50:51], v[0:1], v[8:9] neg_lo:[0,1] neg_hi:[0,1]
	v_mov_b32_e32 v59, v57
	v_mov_b32_e32 v58, v50
	;; [unrolled: 1-line block ×8, first 2 shown]
	v_pk_add_f32 v[58:59], v[58:59], v[64:65] neg_lo:[0,1] neg_hi:[0,1]
	v_mov_b32_e32 v64, v56
	v_mov_b32_e32 v66, v50
	;; [unrolled: 1-line block ×3, first 2 shown]
	v_pk_add_f32 v[0:1], v[8:9], v[0:1]
	v_pk_add_f32 v[8:9], v[40:41], v[12:13]
	v_pk_add_f32 v[64:65], v[64:65], v[66:67] neg_lo:[0,1] neg_hi:[0,1]
	v_mov_b32_e32 v12, v8
	v_mov_b32_e32 v66, v15
	;; [unrolled: 1-line block ×4, first 2 shown]
	v_pk_add_f32 v[8:9], v[0:1], v[8:9]
	v_pk_add_f32 v[66:67], v[12:13], v[66:67] neg_lo:[0,1] neg_hi:[0,1]
	v_mov_b32_e32 v0, v53
	v_pk_add_f32 v[54:55], v[8:9], v[54:55]
	v_pk_mul_f32 v[58:59], v[58:59], s[18:19]
	v_pk_add_f32 v[50:51], v[50:51], v[62:63]
	v_pk_add_f32 v[0:1], v[0:1], v[40:41] neg_lo:[0,1] neg_hi:[0,1]
	v_pk_mul_f32 v[66:67], v[66:67], s[22:23]
	v_pk_add_f32 v[50:51], v[50:51], v[56:57]
	v_pk_fma_f32 v[8:9], v[8:9], s[20:21], v[54:55] op_sel_hi:[1,0,1] neg_lo:[1,0,0] neg_hi:[1,0,0]
	v_pk_fma_f32 v[76:77], v[0:1], s[14:15], v[66:67]
	v_pk_fma_f32 v[78:79], v[64:65], s[4:5], v[58:59]
	v_pk_add_f32 v[76:77], v[76:77], v[8:9]
	v_pk_fma_f32 v[78:79], v[50:51], s[2:3], v[78:79] op_sel_hi:[1,0,1]
	v_mov_b32_e32 v5, v74
	v_pk_add_f32 v[82:83], v[76:77], v[78:79]
	v_pk_add_f32 v[76:77], v[76:77], v[78:79] neg_lo:[0,1] neg_hi:[0,1]
	v_mov_b32_e32 v78, v82
	v_mov_b32_e32 v79, v77
	;; [unrolled: 1-line block ×7, first 2 shown]
	s_waitcnt lgkmcnt(0)
	; wave barrier
	ds_write2_b64 v42, v[54:55], v[78:79] offset1:49
	v_add_f32_e32 v39, v4, v10
	v_pk_add_f32 v[4:5], v[4:5], v[10:11] neg_lo:[0,1] neg_hi:[0,1]
	v_add_f32_e32 v2, v71, v35
	v_pk_add_f32 v[10:11], v[70:71], v[34:35] neg_lo:[0,1] neg_hi:[0,1]
	v_pk_add_f32 v[34:35], v[74:75], v[80:81]
	v_mov_b32_e32 v54, v3
	v_mov_b32_e32 v55, v36
	v_pk_add_f32 v[36:37], v[6:7], v[36:37]
	v_mov_b32_e32 v68, v73
	v_mov_b32_e32 v69, v6
	v_pk_add_f32 v[6:7], v[54:55], v[68:69] neg_lo:[0,1] neg_hi:[0,1]
	v_mov_b32_e32 v54, v36
	v_mov_b32_e32 v55, v39
	;; [unrolled: 1-line block ×4, first 2 shown]
	v_pk_add_f32 v[54:55], v[54:55], v[68:69] neg_lo:[0,1] neg_hi:[0,1]
	v_mov_b32_e32 v68, v6
	v_mov_b32_e32 v69, v5
	;; [unrolled: 1-line block ×4, first 2 shown]
	v_pk_add_f32 v[68:69], v[68:69], v[70:71] neg_lo:[0,1] neg_hi:[0,1]
	v_mov_b32_e32 v70, v4
	v_pk_add_f32 v[72:73], v[6:7], v[10:11]
	v_mov_b32_e32 v7, v11
	v_mov_b32_e32 v3, v37
	;; [unrolled: 1-line block ×3, first 2 shown]
	v_pk_add_f32 v[6:7], v[70:71], v[6:7] neg_lo:[0,1] neg_hi:[0,1]
	v_pk_add_f32 v[70:71], v[34:35], v[36:37] neg_lo:[0,1] neg_hi:[0,1]
	v_mov_b32_e32 v37, v35
	v_pk_add_f32 v[34:35], v[2:3], v[38:39]
	v_mov_b32_e32 v40, v15
	v_mov_b32_e32 v12, v53
	v_pk_mul_f32 v[14:15], v[64:65], s[4:5]
	v_pk_mul_f32 v[0:1], v[0:1], s[14:15]
	v_pk_add_f32 v[34:35], v[36:37], v[34:35]
	v_pk_add_f32 v[36:37], v[62:63], v[56:57] neg_lo:[0,1] neg_hi:[0,1]
	v_pk_add_f32 v[12:13], v[40:41], v[12:13] neg_lo:[0,1] neg_hi:[0,1]
	v_mov_b32_e32 v40, v0
	v_mov_b32_e32 v41, v67
	;; [unrolled: 1-line block ×6, first 2 shown]
	v_pk_fma_f32 v[40:41], v[12:13], s[12:13], v[40:41] op_sel_hi:[1,0,1] neg_lo:[1,0,1] neg_hi:[1,0,1]
	v_pk_fma_f32 v[52:53], v[36:37], s[10:11], v[52:53] op_sel_hi:[1,0,1] neg_lo:[1,0,1] neg_hi:[1,0,1]
	v_pk_fma_f32 v[0:1], v[12:13], s[12:13], v[66:67] op_sel_hi:[1,0,1] neg_lo:[0,0,1] neg_hi:[0,0,1]
	v_pk_fma_f32 v[12:13], v[36:37], s[10:11], v[58:59] op_sel_hi:[1,0,1] neg_lo:[0,0,1] neg_hi:[0,0,1]
	v_pk_add_f32 v[40:41], v[40:41], v[8:9]
	v_pk_fma_f32 v[52:53], v[50:51], s[2:3], v[52:53] op_sel_hi:[1,0,1]
	v_pk_add_f32 v[0:1], v[0:1], v[8:9]
	v_pk_fma_f32 v[12:13], v[50:51], s[2:3], v[12:13] op_sel_hi:[1,0,1]
	v_pk_add_f32 v[56:57], v[40:41], v[52:53]
	v_pk_add_f32 v[40:41], v[40:41], v[52:53] neg_lo:[0,1] neg_hi:[0,1]
	v_pk_add_f32 v[50:51], v[0:1], v[12:13] neg_lo:[0,1] neg_hi:[0,1]
	v_pk_add_f32 v[0:1], v[0:1], v[12:13]
	v_pk_add_f32 v[36:37], v[34:35], v[60:61]
	v_pk_mul_f32 v[52:53], v[54:55], s[22:23]
	v_pk_mul_f32 v[54:55], v[68:69], s[18:19]
	v_mov_b32_e32 v8, v56
	v_mov_b32_e32 v9, v41
	;; [unrolled: 1-line block ×4, first 2 shown]
	v_pk_add_f32 v[14:15], v[72:73], v[4:5]
	v_pk_fma_f32 v[34:35], v[34:35], s[20:21], v[36:37] op_sel_hi:[1,0,1] neg_lo:[1,0,0] neg_hi:[1,0,0]
	ds_write2_b64 v42, v[8:9], v[12:13] offset0:98 offset1:147
	v_pk_fma_f32 v[8:9], v[70:71], s[14:15], v[52:53]
	v_pk_fma_f32 v[12:13], v[6:7], s[4:5], v[54:55]
	v_pk_add_f32 v[8:9], v[8:9], v[34:35]
	v_pk_fma_f32 v[12:13], v[14:15], s[2:3], v[12:13] op_sel_hi:[1,0,1]
	v_pk_mul_f32 v[6:7], v[6:7], s[4:5]
	v_pk_add_f32 v[58:59], v[8:9], v[12:13]
	v_pk_add_f32 v[8:9], v[8:9], v[12:13] neg_lo:[0,1] neg_hi:[0,1]
	v_pk_mul_f32 v[12:13], v[70:71], s[14:15]
	v_mov_b32_e32 v77, v83
	ds_write2_b64 v44, v[76:77], v[36:37] offset0:38 offset1:87
	v_pk_add_f32 v[2:3], v[2:3], v[38:39] neg_lo:[0,1] neg_hi:[0,1]
	v_pk_add_f32 v[4:5], v[10:11], v[4:5] neg_lo:[0,1] neg_hi:[0,1]
	v_mov_b32_e32 v10, v12
	v_mov_b32_e32 v11, v53
	;; [unrolled: 1-line block ×4, first 2 shown]
	v_pk_fma_f32 v[10:11], v[2:3], s[12:13], v[10:11] op_sel_hi:[1,0,1] neg_lo:[1,0,1] neg_hi:[1,0,1]
	v_pk_fma_f32 v[36:37], v[4:5], s[10:11], v[36:37] op_sel_hi:[1,0,1] neg_lo:[1,0,1] neg_hi:[1,0,1]
	v_pk_add_f32 v[10:11], v[10:11], v[34:35]
	v_pk_fma_f32 v[36:37], v[14:15], s[2:3], v[36:37] op_sel_hi:[1,0,1]
	v_mov_b32_e32 v1, v51
	v_mov_b32_e32 v41, v57
	v_pk_add_f32 v[38:39], v[10:11], v[36:37]
	v_pk_add_f32 v[10:11], v[10:11], v[36:37] neg_lo:[0,1] neg_hi:[0,1]
	ds_write2_b64 v42, v[0:1], v[40:41] offset0:196 offset1:245
	v_mov_b32_e32 v0, v58
	v_mov_b32_e32 v1, v9
	;; [unrolled: 1-line block ×6, first 2 shown]
	ds_write2_b64 v44, v[0:1], v[36:37] offset0:136 offset1:185
	v_pk_fma_f32 v[0:1], v[2:3], s[12:13], v[52:53] op_sel_hi:[1,0,1] neg_lo:[0,0,1] neg_hi:[0,0,1]
	v_pk_fma_f32 v[2:3], v[4:5], s[10:11], v[54:55] op_sel_hi:[1,0,1] neg_lo:[0,0,1] neg_hi:[0,0,1]
	v_pk_add_f32 v[0:1], v[0:1], v[34:35]
	v_pk_fma_f32 v[2:3], v[14:15], s[2:3], v[2:3] op_sel_hi:[1,0,1]
	v_mov_b32_e32 v11, v39
	v_pk_add_f32 v[4:5], v[0:1], v[2:3] neg_lo:[0,1] neg_hi:[0,1]
	v_pk_add_f32 v[0:1], v[0:1], v[2:3]
	v_mov_b32_e32 v2, v4
	v_mov_b32_e32 v3, v1
	;; [unrolled: 1-line block ×3, first 2 shown]
	ds_write2_b64 v45, v[2:3], v[0:1] offset0:106 offset1:155
	v_mov_b32_e32 v9, v59
	v_lshl_add_u64 v[0:1], v[18:19], 3, s[8:9]
	ds_write2_b64 v43, v[10:11], v[8:9] offset0:76 offset1:125
	s_waitcnt lgkmcnt(0)
	; wave barrier
	s_waitcnt lgkmcnt(0)
	global_load_dwordx2 v[8:9], v[0:1], off offset:2688
	v_lshl_add_u64 v[0:1], v[32:33], 3, s[8:9]
	global_load_dwordx2 v[12:13], v[0:1], off offset:2688
	v_lshl_add_u64 v[0:1], v[28:29], 3, s[8:9]
	;; [unrolled: 2-line block ×6, first 2 shown]
	global_load_dwordx2 v[22:23], v[0:1], off offset:2688
	ds_read2_b64 v[0:3], v44 offset0:87 offset1:136
	ds_read2_b64 v[4:7], v44 offset0:185 offset1:234
	v_lshl_add_u32 v19, v24, 3, 0
	ds_read2_b32 v[24:25], v43 offset0:54 offset1:55
	v_lshl_add_u32 v50, v28, 3, 0
	ds_read_b64 v[28:29], v42
	s_waitcnt vmcnt(6) lgkmcnt(3)
	v_pk_mul_f32 v[10:11], v[8:9], v[0:1] op_sel:[0,1]
	s_nop 0
	v_pk_fma_f32 v[34:35], v[8:9], v[0:1], v[10:11] op_sel:[0,0,1] op_sel_hi:[1,1,0]
	v_pk_fma_f32 v[0:1], v[8:9], v[0:1], v[10:11] op_sel:[0,0,1] op_sel_hi:[1,0,0] neg_lo:[1,0,0] neg_hi:[1,0,0]
	s_nop 0
	v_mov_b32_e32 v35, v1
	ds_read2_b64 v[8:11], v43 offset0:76 offset1:125
	ds_read_b64 v[0:1], v46
	ds_read_b64 v[36:37], v47
	;; [unrolled: 1-line block ×3, first 2 shown]
	s_waitcnt lgkmcnt(4)
	v_pk_add_f32 v[34:35], v[28:29], v[34:35] neg_lo:[0,1] neg_hi:[0,1]
	s_waitcnt vmcnt(5) lgkmcnt(3)
	v_pk_mul_f32 v[40:41], v[10:11], v[12:13] op_sel:[0,1]
	v_pk_fma_f32 v[28:29], v[28:29], 2.0, v[34:35] op_sel_hi:[1,0,1] neg_lo:[0,0,1] neg_hi:[0,0,1]
	v_pk_fma_f32 v[44:45], v[10:11], v[12:13], v[40:41] op_sel:[0,0,1] op_sel_hi:[1,1,0]
	v_pk_fma_f32 v[10:11], v[10:11], v[12:13], v[40:41] op_sel:[0,0,1] op_sel_hi:[1,0,0] neg_lo:[0,0,1] neg_hi:[0,0,1]
	ds_read_b64 v[40:41], v50
	v_mov_b32_e32 v45, v11
	s_waitcnt vmcnt(4)
	v_pk_mul_f32 v[12:13], v[8:9], v[14:15] op_sel:[0,1]
	s_waitcnt lgkmcnt(3)
	v_pk_add_f32 v[10:11], v[0:1], v[44:45] neg_lo:[0,1] neg_hi:[0,1]
	v_pk_fma_f32 v[44:45], v[8:9], v[14:15], v[12:13] op_sel:[0,0,1] op_sel_hi:[1,1,0]
	v_pk_fma_f32 v[8:9], v[8:9], v[14:15], v[12:13] op_sel:[0,0,1] op_sel_hi:[1,0,0] neg_lo:[0,0,1] neg_hi:[0,0,1]
	v_pk_fma_f32 v[0:1], v[0:1], 2.0, v[10:11] op_sel_hi:[1,0,1] neg_lo:[0,0,1] neg_hi:[0,0,1]
	v_mov_b32_e32 v45, v9
	s_waitcnt lgkmcnt(0)
	v_pk_add_f32 v[12:13], v[40:41], v[44:45] neg_lo:[0,1] neg_hi:[0,1]
	ds_read_b64 v[8:9], v19
	v_pk_fma_f32 v[14:15], v[40:41], 2.0, v[12:13] op_sel_hi:[1,0,1] neg_lo:[0,0,1] neg_hi:[0,0,1]
	v_mov_b32_e32 v40, v25
	s_waitcnt vmcnt(3)
	v_pk_mul_f32 v[40:41], v[40:41], v[30:31] op_sel_hi:[0,1]
	v_pk_fma_f32 v[44:45], v[30:31], v[24:25], v[40:41] op_sel:[0,0,1] op_sel_hi:[1,1,0]
	v_pk_fma_f32 v[24:25], v[30:31], v[24:25], v[40:41] op_sel:[0,0,1] op_sel_hi:[1,0,0] neg_lo:[1,0,0] neg_hi:[1,0,0]
	s_nop 0
	v_mov_b32_e32 v45, v25
	v_pk_add_f32 v[24:25], v[36:37], v[44:45] neg_lo:[0,1] neg_hi:[0,1]
	s_nop 0
	v_pk_fma_f32 v[30:31], v[36:37], 2.0, v[24:25] op_sel_hi:[1,0,1] neg_lo:[0,0,1] neg_hi:[0,0,1]
	s_waitcnt vmcnt(2)
	v_pk_mul_f32 v[36:37], v[32:33], v[6:7] op_sel:[0,1]
	s_nop 0
	v_pk_fma_f32 v[40:41], v[32:33], v[6:7], v[36:37] op_sel:[0,0,1] op_sel_hi:[1,1,0]
	v_pk_fma_f32 v[6:7], v[32:33], v[6:7], v[36:37] op_sel:[0,0,1] op_sel_hi:[1,0,0] neg_lo:[1,0,0] neg_hi:[1,0,0]
	s_waitcnt vmcnt(1)
	v_pk_mul_f32 v[36:37], v[26:27], v[4:5] op_sel:[0,1]
	v_mov_b32_e32 v41, v7
	ds_read_b64 v[6:7], v49
	s_waitcnt lgkmcnt(1)
	v_pk_add_f32 v[32:33], v[8:9], v[40:41] neg_lo:[0,1] neg_hi:[0,1]
	v_pk_fma_f32 v[40:41], v[26:27], v[4:5], v[36:37] op_sel:[0,0,1] op_sel_hi:[1,1,0]
	v_pk_fma_f32 v[4:5], v[26:27], v[4:5], v[36:37] op_sel:[0,0,1] op_sel_hi:[1,0,0] neg_lo:[1,0,0] neg_hi:[1,0,0]
	s_waitcnt vmcnt(0)
	v_pk_mul_f32 v[36:37], v[22:23], v[2:3] op_sel:[0,1]
	v_mov_b32_e32 v41, v5
	v_pk_add_f32 v[4:5], v[38:39], v[40:41] neg_lo:[0,1] neg_hi:[0,1]
	v_pk_fma_f32 v[8:9], v[8:9], 2.0, v[32:33] op_sel_hi:[1,0,1] neg_lo:[0,0,1] neg_hi:[0,0,1]
	v_pk_fma_f32 v[26:27], v[38:39], 2.0, v[4:5] op_sel_hi:[1,0,1] neg_lo:[0,0,1] neg_hi:[0,0,1]
	v_pk_fma_f32 v[38:39], v[22:23], v[2:3], v[36:37] op_sel:[0,0,1] op_sel_hi:[1,1,0]
	v_pk_fma_f32 v[2:3], v[22:23], v[2:3], v[36:37] op_sel:[0,0,1] op_sel_hi:[1,0,0] neg_lo:[1,0,0] neg_hi:[1,0,0]
	s_waitcnt lgkmcnt(0)
	v_mov_b32_e32 v39, v3
	v_pk_add_f32 v[2:3], v[6:7], v[38:39] neg_lo:[0,1] neg_hi:[0,1]
	; wave barrier
	s_nop 0
	v_pk_fma_f32 v[6:7], v[6:7], 2.0, v[2:3] op_sel_hi:[1,0,1] neg_lo:[0,0,1] neg_hi:[0,0,1]
	ds_write_b64 v42, v[28:29]
	ds_write_b64 v42, v[34:35] offset:2744
	ds_write_b64 v49, v[6:7]
	ds_write_b64 v49, v[2:3] offset:2744
	;; [unrolled: 2-line block ×7, first 2 shown]
	s_waitcnt lgkmcnt(0)
	; wave barrier
	s_waitcnt lgkmcnt(0)
	s_and_saveexec_b64 s[2:3], vcc
	s_cbranch_execz .LBB0_15
; %bb.14:
	v_mul_lo_u32 v0, s1, v20
	v_mul_lo_u32 v1, s0, v21
	v_mad_u64_u32 v[4:5], s[0:1], s0, v20, 0
	v_mad_u64_u32 v[6:7], s[0:1], s16, v18, 0
	v_add3_u32 v5, v5, v1, v0
	v_mov_b32_e32 v0, v7
	v_lshl_add_u32 v10, v18, 3, 0
	v_mad_u64_u32 v[8:9], s[0:1], s17, v18, v[0:1]
	ds_read2_b64 v[0:3], v10 offset1:49
	v_lshl_add_u64 v[4:5], v[4:5], 3, s[6:7]
	v_mov_b32_e32 v7, v8
	v_lshl_add_u64 v[4:5], v[16:17], 3, v[4:5]
	v_lshl_add_u64 v[6:7], v[6:7], 3, v[4:5]
	s_waitcnt lgkmcnt(0)
	global_store_dwordx2 v[6:7], v[0:1], off
	v_add_u32_e32 v7, 49, v18
	v_mad_u64_u32 v[0:1], s[0:1], s16, v7, 0
	v_mov_b32_e32 v6, v1
	v_mad_u64_u32 v[6:7], s[0:1], s17, v7, v[6:7]
	v_mov_b32_e32 v1, v6
	v_lshl_add_u64 v[0:1], v[0:1], 3, v[4:5]
	v_add_u32_e32 v9, 0x62, v18
	global_store_dwordx2 v[0:1], v[2:3], off
	v_mad_u64_u32 v[6:7], s[0:1], s16, v9, 0
	ds_read2_b64 v[0:3], v10 offset0:98 offset1:147
	v_mov_b32_e32 v8, v7
	v_mad_u64_u32 v[8:9], s[0:1], s17, v9, v[8:9]
	v_mov_b32_e32 v7, v8
	v_lshl_add_u64 v[6:7], v[6:7], 3, v[4:5]
	s_waitcnt lgkmcnt(0)
	global_store_dwordx2 v[6:7], v[0:1], off
	v_add_u32_e32 v7, 0x93, v18
	v_mad_u64_u32 v[0:1], s[0:1], s16, v7, 0
	v_mov_b32_e32 v6, v1
	v_mad_u64_u32 v[6:7], s[0:1], s17, v7, v[6:7]
	v_mov_b32_e32 v1, v6
	v_lshl_add_u64 v[0:1], v[0:1], 3, v[4:5]
	v_add_u32_e32 v9, 0xc4, v18
	global_store_dwordx2 v[0:1], v[2:3], off
	v_mad_u64_u32 v[6:7], s[0:1], s16, v9, 0
	ds_read2_b64 v[0:3], v10 offset0:196 offset1:245
	v_mov_b32_e32 v8, v7
	v_mad_u64_u32 v[8:9], s[0:1], s17, v9, v[8:9]
	v_mov_b32_e32 v7, v8
	v_lshl_add_u64 v[6:7], v[6:7], 3, v[4:5]
	s_waitcnt lgkmcnt(0)
	global_store_dwordx2 v[6:7], v[0:1], off
	v_add_u32_e32 v7, 0xf5, v18
	v_mad_u64_u32 v[0:1], s[0:1], s16, v7, 0
	v_mov_b32_e32 v6, v1
	v_mad_u64_u32 v[6:7], s[0:1], s17, v7, v[6:7]
	v_mov_b32_e32 v1, v6
	v_lshl_add_u64 v[0:1], v[0:1], 3, v[4:5]
	v_add_u32_e32 v9, 0x126, v18
	v_add_u32_e32 v11, 0x800, v10
	global_store_dwordx2 v[0:1], v[2:3], off
	v_mad_u64_u32 v[6:7], s[0:1], s16, v9, 0
	ds_read2_b64 v[0:3], v11 offset0:38 offset1:87
	v_mov_b32_e32 v8, v7
	v_mad_u64_u32 v[8:9], s[0:1], s17, v9, v[8:9]
	v_mov_b32_e32 v7, v8
	v_lshl_add_u64 v[6:7], v[6:7], 3, v[4:5]
	s_waitcnt lgkmcnt(0)
	global_store_dwordx2 v[6:7], v[0:1], off
	v_add_u32_e32 v7, 0x157, v18
	v_mad_u64_u32 v[0:1], s[0:1], s16, v7, 0
	v_mov_b32_e32 v6, v1
	v_mad_u64_u32 v[6:7], s[0:1], s17, v7, v[6:7]
	v_mov_b32_e32 v1, v6
	v_lshl_add_u64 v[0:1], v[0:1], 3, v[4:5]
	v_add_u32_e32 v9, 0x188, v18
	global_store_dwordx2 v[0:1], v[2:3], off
	v_mad_u64_u32 v[6:7], s[0:1], s16, v9, 0
	ds_read2_b64 v[0:3], v11 offset0:136 offset1:185
	v_mov_b32_e32 v8, v7
	v_mad_u64_u32 v[8:9], s[0:1], s17, v9, v[8:9]
	v_mov_b32_e32 v7, v8
	v_lshl_add_u64 v[6:7], v[6:7], 3, v[4:5]
	s_waitcnt lgkmcnt(0)
	global_store_dwordx2 v[6:7], v[0:1], off
	v_add_u32_e32 v7, 0x1b9, v18
	v_mad_u64_u32 v[0:1], s[0:1], s16, v7, 0
	v_mov_b32_e32 v6, v1
	v_mad_u64_u32 v[6:7], s[0:1], s17, v7, v[6:7]
	v_mov_b32_e32 v1, v6
	v_lshl_add_u64 v[0:1], v[0:1], 3, v[4:5]
	global_store_dwordx2 v[0:1], v[2:3], off
	v_add_u32_e32 v9, 0x1ea, v18
	v_add_u32_e32 v0, 0xc00, v10
	v_mad_u64_u32 v[6:7], s[0:1], s16, v9, 0
	ds_read2_b64 v[0:3], v0 offset0:106 offset1:155
	v_mov_b32_e32 v8, v7
	v_mad_u64_u32 v[8:9], s[0:1], s17, v9, v[8:9]
	v_mov_b32_e32 v7, v8
	v_lshl_add_u64 v[6:7], v[6:7], 3, v[4:5]
	s_waitcnt lgkmcnt(0)
	global_store_dwordx2 v[6:7], v[0:1], off
	v_add_u32_e32 v7, 0x21b, v18
	v_mad_u64_u32 v[0:1], s[0:1], s16, v7, 0
	v_mov_b32_e32 v6, v1
	v_mad_u64_u32 v[6:7], s[0:1], s17, v7, v[6:7]
	v_mov_b32_e32 v1, v6
	v_lshl_add_u64 v[0:1], v[0:1], 3, v[4:5]
	global_store_dwordx2 v[0:1], v[2:3], off
	v_add_u32_e32 v9, 0x24c, v18
	v_add_u32_e32 v0, 0x1000, v10
	v_mad_u64_u32 v[6:7], s[0:1], s16, v9, 0
	ds_read2_b64 v[0:3], v0 offset0:76 offset1:125
	v_mov_b32_e32 v8, v7
	v_mad_u64_u32 v[8:9], s[0:1], s17, v9, v[8:9]
	v_mov_b32_e32 v7, v8
	v_lshl_add_u64 v[6:7], v[6:7], 3, v[4:5]
	s_waitcnt lgkmcnt(0)
	global_store_dwordx2 v[6:7], v[0:1], off
	v_add_u32_e32 v7, 0x27d, v18
	v_mad_u64_u32 v[0:1], s[0:1], s16, v7, 0
	v_mov_b32_e32 v6, v1
	v_mad_u64_u32 v[6:7], s[0:1], s17, v7, v[6:7]
	v_mov_b32_e32 v1, v6
	v_lshl_add_u64 v[0:1], v[0:1], 3, v[4:5]
	global_store_dwordx2 v[0:1], v[2:3], off
.LBB0_15:
	s_endpgm
	.section	.rodata,"a",@progbits
	.p2align	6, 0x0
	.amdhsa_kernel fft_rtc_back_len686_factors_7_7_7_2_wgs_49_tpt_49_sp_op_CI_CI_sbrr_dirReg
		.amdhsa_group_segment_fixed_size 0
		.amdhsa_private_segment_fixed_size 0
		.amdhsa_kernarg_size 104
		.amdhsa_user_sgpr_count 2
		.amdhsa_user_sgpr_dispatch_ptr 0
		.amdhsa_user_sgpr_queue_ptr 0
		.amdhsa_user_sgpr_kernarg_segment_ptr 1
		.amdhsa_user_sgpr_dispatch_id 0
		.amdhsa_user_sgpr_kernarg_preload_length 0
		.amdhsa_user_sgpr_kernarg_preload_offset 0
		.amdhsa_user_sgpr_private_segment_size 0
		.amdhsa_uses_dynamic_stack 0
		.amdhsa_enable_private_segment 0
		.amdhsa_system_sgpr_workgroup_id_x 1
		.amdhsa_system_sgpr_workgroup_id_y 0
		.amdhsa_system_sgpr_workgroup_id_z 0
		.amdhsa_system_sgpr_workgroup_info 0
		.amdhsa_system_vgpr_workitem_id 0
		.amdhsa_next_free_vgpr 93
		.amdhsa_next_free_sgpr 32
		.amdhsa_accum_offset 96
		.amdhsa_reserve_vcc 1
		.amdhsa_float_round_mode_32 0
		.amdhsa_float_round_mode_16_64 0
		.amdhsa_float_denorm_mode_32 3
		.amdhsa_float_denorm_mode_16_64 3
		.amdhsa_dx10_clamp 1
		.amdhsa_ieee_mode 1
		.amdhsa_fp16_overflow 0
		.amdhsa_tg_split 0
		.amdhsa_exception_fp_ieee_invalid_op 0
		.amdhsa_exception_fp_denorm_src 0
		.amdhsa_exception_fp_ieee_div_zero 0
		.amdhsa_exception_fp_ieee_overflow 0
		.amdhsa_exception_fp_ieee_underflow 0
		.amdhsa_exception_fp_ieee_inexact 0
		.amdhsa_exception_int_div_zero 0
	.end_amdhsa_kernel
	.text
.Lfunc_end0:
	.size	fft_rtc_back_len686_factors_7_7_7_2_wgs_49_tpt_49_sp_op_CI_CI_sbrr_dirReg, .Lfunc_end0-fft_rtc_back_len686_factors_7_7_7_2_wgs_49_tpt_49_sp_op_CI_CI_sbrr_dirReg
                                        ; -- End function
	.section	.AMDGPU.csdata,"",@progbits
; Kernel info:
; codeLenInByte = 8388
; NumSgprs: 38
; NumVgprs: 93
; NumAgprs: 0
; TotalNumVgprs: 93
; ScratchSize: 0
; MemoryBound: 0
; FloatMode: 240
; IeeeMode: 1
; LDSByteSize: 0 bytes/workgroup (compile time only)
; SGPRBlocks: 4
; VGPRBlocks: 11
; NumSGPRsForWavesPerEU: 38
; NumVGPRsForWavesPerEU: 93
; AccumOffset: 96
; Occupancy: 5
; WaveLimiterHint : 1
; COMPUTE_PGM_RSRC2:SCRATCH_EN: 0
; COMPUTE_PGM_RSRC2:USER_SGPR: 2
; COMPUTE_PGM_RSRC2:TRAP_HANDLER: 0
; COMPUTE_PGM_RSRC2:TGID_X_EN: 1
; COMPUTE_PGM_RSRC2:TGID_Y_EN: 0
; COMPUTE_PGM_RSRC2:TGID_Z_EN: 0
; COMPUTE_PGM_RSRC2:TIDIG_COMP_CNT: 0
; COMPUTE_PGM_RSRC3_GFX90A:ACCUM_OFFSET: 23
; COMPUTE_PGM_RSRC3_GFX90A:TG_SPLIT: 0
	.text
	.p2alignl 6, 3212836864
	.fill 256, 4, 3212836864
	.type	__hip_cuid_dbd82f1c116e9fd0,@object ; @__hip_cuid_dbd82f1c116e9fd0
	.section	.bss,"aw",@nobits
	.globl	__hip_cuid_dbd82f1c116e9fd0
__hip_cuid_dbd82f1c116e9fd0:
	.byte	0                               ; 0x0
	.size	__hip_cuid_dbd82f1c116e9fd0, 1

	.ident	"AMD clang version 19.0.0git (https://github.com/RadeonOpenCompute/llvm-project roc-6.4.0 25133 c7fe45cf4b819c5991fe208aaa96edf142730f1d)"
	.section	".note.GNU-stack","",@progbits
	.addrsig
	.addrsig_sym __hip_cuid_dbd82f1c116e9fd0
	.amdgpu_metadata
---
amdhsa.kernels:
  - .agpr_count:     0
    .args:
      - .actual_access:  read_only
        .address_space:  global
        .offset:         0
        .size:           8
        .value_kind:     global_buffer
      - .offset:         8
        .size:           8
        .value_kind:     by_value
      - .actual_access:  read_only
        .address_space:  global
        .offset:         16
        .size:           8
        .value_kind:     global_buffer
      - .actual_access:  read_only
        .address_space:  global
        .offset:         24
        .size:           8
        .value_kind:     global_buffer
      - .actual_access:  read_only
        .address_space:  global
        .offset:         32
        .size:           8
        .value_kind:     global_buffer
      - .offset:         40
        .size:           8
        .value_kind:     by_value
      - .actual_access:  read_only
        .address_space:  global
        .offset:         48
        .size:           8
        .value_kind:     global_buffer
      - .actual_access:  read_only
        .address_space:  global
        .offset:         56
        .size:           8
        .value_kind:     global_buffer
      - .offset:         64
        .size:           4
        .value_kind:     by_value
      - .actual_access:  read_only
        .address_space:  global
        .offset:         72
        .size:           8
        .value_kind:     global_buffer
      - .actual_access:  read_only
        .address_space:  global
        .offset:         80
        .size:           8
        .value_kind:     global_buffer
      - .actual_access:  read_only
        .address_space:  global
        .offset:         88
        .size:           8
        .value_kind:     global_buffer
      - .actual_access:  write_only
        .address_space:  global
        .offset:         96
        .size:           8
        .value_kind:     global_buffer
    .group_segment_fixed_size: 0
    .kernarg_segment_align: 8
    .kernarg_segment_size: 104
    .language:       OpenCL C
    .language_version:
      - 2
      - 0
    .max_flat_workgroup_size: 49
    .name:           fft_rtc_back_len686_factors_7_7_7_2_wgs_49_tpt_49_sp_op_CI_CI_sbrr_dirReg
    .private_segment_fixed_size: 0
    .sgpr_count:     38
    .sgpr_spill_count: 0
    .symbol:         fft_rtc_back_len686_factors_7_7_7_2_wgs_49_tpt_49_sp_op_CI_CI_sbrr_dirReg.kd
    .uniform_work_group_size: 1
    .uses_dynamic_stack: false
    .vgpr_count:     93
    .vgpr_spill_count: 0
    .wavefront_size: 64
amdhsa.target:   amdgcn-amd-amdhsa--gfx950
amdhsa.version:
  - 1
  - 2
...

	.end_amdgpu_metadata
